;; amdgpu-corpus repo=ROCm/rocFFT kind=compiled arch=gfx1030 opt=O3
	.text
	.amdgcn_target "amdgcn-amd-amdhsa--gfx1030"
	.amdhsa_code_object_version 6
	.protected	fft_rtc_fwd_len1664_factors_13_2_2_4_2_2_2_wgs_208_tpt_208_halfLds_dp_op_CI_CI_unitstride_sbrr_dirReg ; -- Begin function fft_rtc_fwd_len1664_factors_13_2_2_4_2_2_2_wgs_208_tpt_208_halfLds_dp_op_CI_CI_unitstride_sbrr_dirReg
	.globl	fft_rtc_fwd_len1664_factors_13_2_2_4_2_2_2_wgs_208_tpt_208_halfLds_dp_op_CI_CI_unitstride_sbrr_dirReg
	.p2align	8
	.type	fft_rtc_fwd_len1664_factors_13_2_2_4_2_2_2_wgs_208_tpt_208_halfLds_dp_op_CI_CI_unitstride_sbrr_dirReg,@function
fft_rtc_fwd_len1664_factors_13_2_2_4_2_2_2_wgs_208_tpt_208_halfLds_dp_op_CI_CI_unitstride_sbrr_dirReg: ; @fft_rtc_fwd_len1664_factors_13_2_2_4_2_2_2_wgs_208_tpt_208_halfLds_dp_op_CI_CI_unitstride_sbrr_dirReg
; %bb.0:
	s_clause 0x2
	s_load_dwordx4 s[12:15], s[4:5], 0x0
	s_load_dwordx4 s[8:11], s[4:5], 0x58
	;; [unrolled: 1-line block ×3, first 2 shown]
	v_mul_u32_u24_e32 v2, 0x13c, v0
	v_mov_b32_e32 v1, 0
	v_mov_b32_e32 v4, 0
	;; [unrolled: 1-line block ×3, first 2 shown]
	v_add_nc_u32_sdwa v6, s6, v2 dst_sel:DWORD dst_unused:UNUSED_PAD src0_sel:DWORD src1_sel:WORD_1
	v_mov_b32_e32 v7, v1
	s_waitcnt lgkmcnt(0)
	v_cmp_lt_u64_e64 s0, s[14:15], 2
	s_and_b32 vcc_lo, exec_lo, s0
	s_cbranch_vccnz .LBB0_8
; %bb.1:
	s_load_dwordx2 s[0:1], s[4:5], 0x10
	v_mov_b32_e32 v4, 0
	v_mov_b32_e32 v5, 0
	s_add_u32 s2, s18, 8
	s_addc_u32 s3, s19, 0
	s_add_u32 s6, s16, 8
	s_addc_u32 s7, s17, 0
	v_mov_b32_e32 v69, v5
	v_mov_b32_e32 v68, v4
	s_mov_b64 s[22:23], 1
	s_waitcnt lgkmcnt(0)
	s_add_u32 s20, s0, 8
	s_addc_u32 s21, s1, 0
.LBB0_2:                                ; =>This Inner Loop Header: Depth=1
	s_load_dwordx2 s[24:25], s[20:21], 0x0
                                        ; implicit-def: $vgpr70_vgpr71
	s_mov_b32 s0, exec_lo
	s_waitcnt lgkmcnt(0)
	v_or_b32_e32 v2, s25, v7
	v_cmpx_ne_u64_e32 0, v[1:2]
	s_xor_b32 s1, exec_lo, s0
	s_cbranch_execz .LBB0_4
; %bb.3:                                ;   in Loop: Header=BB0_2 Depth=1
	v_cvt_f32_u32_e32 v2, s24
	v_cvt_f32_u32_e32 v3, s25
	s_sub_u32 s0, 0, s24
	s_subb_u32 s26, 0, s25
	v_fmac_f32_e32 v2, 0x4f800000, v3
	v_rcp_f32_e32 v2, v2
	v_mul_f32_e32 v2, 0x5f7ffffc, v2
	v_mul_f32_e32 v3, 0x2f800000, v2
	v_trunc_f32_e32 v3, v3
	v_fmac_f32_e32 v2, 0xcf800000, v3
	v_cvt_u32_f32_e32 v3, v3
	v_cvt_u32_f32_e32 v2, v2
	v_mul_lo_u32 v8, s0, v3
	v_mul_hi_u32 v9, s0, v2
	v_mul_lo_u32 v10, s26, v2
	v_add_nc_u32_e32 v8, v9, v8
	v_mul_lo_u32 v9, s0, v2
	v_add_nc_u32_e32 v8, v8, v10
	v_mul_hi_u32 v10, v2, v9
	v_mul_lo_u32 v11, v2, v8
	v_mul_hi_u32 v12, v2, v8
	v_mul_hi_u32 v13, v3, v9
	v_mul_lo_u32 v9, v3, v9
	v_mul_hi_u32 v14, v3, v8
	v_mul_lo_u32 v8, v3, v8
	v_add_co_u32 v10, vcc_lo, v10, v11
	v_add_co_ci_u32_e32 v11, vcc_lo, 0, v12, vcc_lo
	v_add_co_u32 v9, vcc_lo, v10, v9
	v_add_co_ci_u32_e32 v9, vcc_lo, v11, v13, vcc_lo
	v_add_co_ci_u32_e32 v10, vcc_lo, 0, v14, vcc_lo
	v_add_co_u32 v8, vcc_lo, v9, v8
	v_add_co_ci_u32_e32 v9, vcc_lo, 0, v10, vcc_lo
	v_add_co_u32 v2, vcc_lo, v2, v8
	v_add_co_ci_u32_e32 v3, vcc_lo, v3, v9, vcc_lo
	v_mul_hi_u32 v8, s0, v2
	v_mul_lo_u32 v10, s26, v2
	v_mul_lo_u32 v9, s0, v3
	v_add_nc_u32_e32 v8, v8, v9
	v_mul_lo_u32 v9, s0, v2
	v_add_nc_u32_e32 v8, v8, v10
	v_mul_hi_u32 v10, v2, v9
	v_mul_lo_u32 v11, v2, v8
	v_mul_hi_u32 v12, v2, v8
	v_mul_hi_u32 v13, v3, v9
	v_mul_lo_u32 v9, v3, v9
	v_mul_hi_u32 v14, v3, v8
	v_mul_lo_u32 v8, v3, v8
	v_add_co_u32 v10, vcc_lo, v10, v11
	v_add_co_ci_u32_e32 v11, vcc_lo, 0, v12, vcc_lo
	v_add_co_u32 v9, vcc_lo, v10, v9
	v_add_co_ci_u32_e32 v9, vcc_lo, v11, v13, vcc_lo
	v_add_co_ci_u32_e32 v10, vcc_lo, 0, v14, vcc_lo
	v_add_co_u32 v8, vcc_lo, v9, v8
	v_add_co_ci_u32_e32 v9, vcc_lo, 0, v10, vcc_lo
	v_add_co_u32 v8, vcc_lo, v2, v8
	v_add_co_ci_u32_e32 v10, vcc_lo, v3, v9, vcc_lo
	v_mul_hi_u32 v12, v6, v8
	v_mad_u64_u32 v[8:9], null, v7, v8, 0
	v_mad_u64_u32 v[2:3], null, v6, v10, 0
	;; [unrolled: 1-line block ×3, first 2 shown]
	v_add_co_u32 v2, vcc_lo, v12, v2
	v_add_co_ci_u32_e32 v3, vcc_lo, 0, v3, vcc_lo
	v_add_co_u32 v2, vcc_lo, v2, v8
	v_add_co_ci_u32_e32 v2, vcc_lo, v3, v9, vcc_lo
	v_add_co_ci_u32_e32 v3, vcc_lo, 0, v11, vcc_lo
	v_add_co_u32 v8, vcc_lo, v2, v10
	v_add_co_ci_u32_e32 v9, vcc_lo, 0, v3, vcc_lo
	v_mul_lo_u32 v10, s25, v8
	v_mad_u64_u32 v[2:3], null, s24, v8, 0
	v_mul_lo_u32 v11, s24, v9
	v_sub_co_u32 v2, vcc_lo, v6, v2
	v_add3_u32 v3, v3, v11, v10
	v_sub_nc_u32_e32 v10, v7, v3
	v_subrev_co_ci_u32_e64 v10, s0, s25, v10, vcc_lo
	v_add_co_u32 v11, s0, v8, 2
	v_add_co_ci_u32_e64 v12, s0, 0, v9, s0
	v_sub_co_u32 v13, s0, v2, s24
	v_sub_co_ci_u32_e32 v3, vcc_lo, v7, v3, vcc_lo
	v_subrev_co_ci_u32_e64 v10, s0, 0, v10, s0
	v_cmp_le_u32_e32 vcc_lo, s24, v13
	v_cmp_eq_u32_e64 s0, s25, v3
	v_cndmask_b32_e64 v13, 0, -1, vcc_lo
	v_cmp_le_u32_e32 vcc_lo, s25, v10
	v_cndmask_b32_e64 v14, 0, -1, vcc_lo
	v_cmp_le_u32_e32 vcc_lo, s24, v2
	;; [unrolled: 2-line block ×3, first 2 shown]
	v_cndmask_b32_e64 v15, 0, -1, vcc_lo
	v_cmp_eq_u32_e32 vcc_lo, s25, v10
	v_cndmask_b32_e64 v2, v15, v2, s0
	v_cndmask_b32_e32 v10, v14, v13, vcc_lo
	v_add_co_u32 v13, vcc_lo, v8, 1
	v_add_co_ci_u32_e32 v14, vcc_lo, 0, v9, vcc_lo
	v_cmp_ne_u32_e32 vcc_lo, 0, v10
	v_cndmask_b32_e32 v3, v14, v12, vcc_lo
	v_cndmask_b32_e32 v10, v13, v11, vcc_lo
	v_cmp_ne_u32_e32 vcc_lo, 0, v2
	v_cndmask_b32_e32 v71, v9, v3, vcc_lo
	v_cndmask_b32_e32 v70, v8, v10, vcc_lo
.LBB0_4:                                ;   in Loop: Header=BB0_2 Depth=1
	s_andn2_saveexec_b32 s0, s1
	s_cbranch_execz .LBB0_6
; %bb.5:                                ;   in Loop: Header=BB0_2 Depth=1
	v_cvt_f32_u32_e32 v2, s24
	s_sub_i32 s1, 0, s24
	v_mov_b32_e32 v71, v1
	v_rcp_iflag_f32_e32 v2, v2
	v_mul_f32_e32 v2, 0x4f7ffffe, v2
	v_cvt_u32_f32_e32 v2, v2
	v_mul_lo_u32 v3, s1, v2
	v_mul_hi_u32 v3, v2, v3
	v_add_nc_u32_e32 v2, v2, v3
	v_mul_hi_u32 v2, v6, v2
	v_mul_lo_u32 v3, v2, s24
	v_add_nc_u32_e32 v8, 1, v2
	v_sub_nc_u32_e32 v3, v6, v3
	v_subrev_nc_u32_e32 v9, s24, v3
	v_cmp_le_u32_e32 vcc_lo, s24, v3
	v_cndmask_b32_e32 v3, v3, v9, vcc_lo
	v_cndmask_b32_e32 v2, v2, v8, vcc_lo
	v_cmp_le_u32_e32 vcc_lo, s24, v3
	v_add_nc_u32_e32 v8, 1, v2
	v_cndmask_b32_e32 v70, v2, v8, vcc_lo
.LBB0_6:                                ;   in Loop: Header=BB0_2 Depth=1
	s_or_b32 exec_lo, exec_lo, s0
	v_mul_lo_u32 v8, v71, s24
	v_mul_lo_u32 v9, v70, s25
	s_load_dwordx2 s[0:1], s[6:7], 0x0
	v_mad_u64_u32 v[2:3], null, v70, s24, 0
	s_load_dwordx2 s[24:25], s[2:3], 0x0
	s_add_u32 s22, s22, 1
	s_addc_u32 s23, s23, 0
	s_add_u32 s2, s2, 8
	s_addc_u32 s3, s3, 0
	s_add_u32 s6, s6, 8
	v_add3_u32 v3, v3, v9, v8
	v_sub_co_u32 v2, vcc_lo, v6, v2
	s_addc_u32 s7, s7, 0
	s_add_u32 s20, s20, 8
	v_sub_co_ci_u32_e32 v3, vcc_lo, v7, v3, vcc_lo
	s_addc_u32 s21, s21, 0
	s_waitcnt lgkmcnt(0)
	v_mul_lo_u32 v6, s0, v3
	v_mul_lo_u32 v7, s1, v2
	v_mad_u64_u32 v[4:5], null, s0, v2, v[4:5]
	v_mul_lo_u32 v3, s24, v3
	v_mul_lo_u32 v8, s25, v2
	v_mad_u64_u32 v[68:69], null, s24, v2, v[68:69]
	v_cmp_ge_u64_e64 s0, s[22:23], s[14:15]
	v_add3_u32 v5, v7, v5, v6
	v_add3_u32 v69, v8, v69, v3
	s_and_b32 vcc_lo, exec_lo, s0
	s_cbranch_vccnz .LBB0_9
; %bb.7:                                ;   in Loop: Header=BB0_2 Depth=1
	v_mov_b32_e32 v6, v70
	v_mov_b32_e32 v7, v71
	s_branch .LBB0_2
.LBB0_8:
	v_mov_b32_e32 v69, v5
	v_mov_b32_e32 v71, v7
	;; [unrolled: 1-line block ×4, first 2 shown]
.LBB0_9:
	s_load_dwordx2 s[0:1], s[4:5], 0x28
	v_mul_hi_u32 v1, 0x13b13b2, v0
	s_lshl_b64 s[4:5], s[14:15], 3
                                        ; implicit-def: $vgpr50_vgpr51
                                        ; implicit-def: $vgpr46_vgpr47
                                        ; implicit-def: $vgpr30_vgpr31
                                        ; implicit-def: $vgpr22_vgpr23
                                        ; implicit-def: $vgpr6_vgpr7
                                        ; implicit-def: $vgpr10_vgpr11
                                        ; implicit-def: $vgpr14_vgpr15
                                        ; implicit-def: $vgpr26_vgpr27
                                        ; implicit-def: $vgpr34_vgpr35
                                        ; implicit-def: $vgpr18_vgpr19
                                        ; implicit-def: $vgpr42_vgpr43
                                        ; implicit-def: $vgpr38_vgpr39
                                        ; implicit-def: $vgpr2_vgpr3
	s_add_u32 s2, s18, s4
	s_addc_u32 s3, s19, s5
	v_mul_u32_u24_e32 v1, 0xd0, v1
	v_sub_nc_u32_e32 v72, v0, v1
	s_waitcnt lgkmcnt(0)
	v_cmp_gt_u64_e32 vcc_lo, s[0:1], v[70:71]
	v_cmp_gt_u32_e64 s0, 0x80, v72
	s_and_b32 s1, vcc_lo, s0
	s_and_saveexec_b32 s6, s1
	s_cbranch_execz .LBB0_11
; %bb.10:
	s_add_u32 s4, s16, s4
	s_addc_u32 s5, s17, s5
	v_lshlrev_b64 v[0:1], 4, v[4:5]
	s_load_dwordx2 s[4:5], s[4:5], 0x0
	v_mov_b32_e32 v73, 0
	v_or_b32_e32 v4, 0x80, v72
	v_or_b32_e32 v6, 0x100, v72
	;; [unrolled: 1-line block ×4, first 2 shown]
	v_lshlrev_b64 v[16:17], 4, v[72:73]
	v_mov_b32_e32 v9, v73
	v_mov_b32_e32 v11, v73
	v_or_b32_e32 v12, 0x280, v72
	v_mov_b32_e32 v13, v73
	v_or_b32_e32 v14, 0x300, v72
	v_mov_b32_e32 v15, v73
	v_lshlrev_b64 v[12:13], 4, v[12:13]
	s_waitcnt lgkmcnt(0)
	v_mul_lo_u32 v5, s5, v70
	v_mul_lo_u32 v7, s4, v71
	v_mad_u64_u32 v[2:3], null, s4, v70, 0
	v_add3_u32 v3, v3, v7, v5
	v_mov_b32_e32 v5, v73
	v_mov_b32_e32 v7, v73
	v_lshlrev_b64 v[2:3], 4, v[2:3]
	v_lshlrev_b64 v[4:5], 4, v[4:5]
	;; [unrolled: 1-line block ×3, first 2 shown]
	v_add_co_u32 v18, s1, s8, v2
	v_add_co_ci_u32_e64 v19, s1, s9, v3, s1
	v_lshlrev_b64 v[2:3], 4, v[8:9]
	v_add_co_u32 v24, s1, v18, v0
	v_add_co_ci_u32_e64 v25, s1, v19, v1, s1
	v_lshlrev_b64 v[8:9], 4, v[10:11]
	v_add_co_u32 v0, s1, v24, v16
	v_add_co_ci_u32_e64 v1, s1, v25, v17, s1
	v_add_co_u32 v4, s1, v24, v4
	v_add_co_ci_u32_e64 v5, s1, v25, v5, s1
	;; [unrolled: 2-line block ×4, first 2 shown]
	s_clause 0x3
	global_load_dwordx4 v[0:3], v[0:1], off
	global_load_dwordx4 v[48:51], v[4:5], off
	;; [unrolled: 1-line block ×4, first 2 shown]
	v_add_co_u32 v4, s1, v24, v8
	v_add_co_ci_u32_e64 v5, s1, v25, v9, s1
	v_or_b32_e32 v8, 0x380, v72
	v_mov_b32_e32 v9, v73
	v_lshlrev_b64 v[6:7], 4, v[14:15]
	v_add_co_u32 v10, s1, v24, v12
	v_add_co_ci_u32_e64 v11, s1, v25, v13, s1
	v_lshlrev_b64 v[8:9], 4, v[8:9]
	v_add_co_u32 v6, s1, v24, v6
	v_add_co_ci_u32_e64 v7, s1, v25, v7, s1
	v_or_b32_e32 v12, 0x400, v72
	v_add_co_u32 v8, s1, v24, v8
	v_mov_b32_e32 v13, v73
	v_add_co_ci_u32_e64 v9, s1, v25, v9, s1
	v_or_b32_e32 v14, 0x480, v72
	s_clause 0x1
	global_load_dwordx4 v[40:43], v[4:5], off
	global_load_dwordx4 v[28:31], v[10:11], off
	v_lshlrev_b64 v[4:5], 4, v[12:13]
	s_clause 0x1
	global_load_dwordx4 v[20:23], v[6:7], off
	global_load_dwordx4 v[16:19], v[8:9], off
	v_or_b32_e32 v8, 0x500, v72
	v_mov_b32_e32 v9, v73
	v_lshlrev_b64 v[6:7], 4, v[14:15]
	v_or_b32_e32 v10, 0x580, v72
	v_mov_b32_e32 v11, v73
	v_add_co_u32 v4, s1, v24, v4
	v_lshlrev_b64 v[8:9], 4, v[8:9]
	v_or_b32_e32 v12, 0x600, v72
	v_add_co_ci_u32_e64 v5, s1, v25, v5, s1
	v_add_co_u32 v6, s1, v24, v6
	v_lshlrev_b64 v[10:11], 4, v[10:11]
	v_add_co_ci_u32_e64 v7, s1, v25, v7, s1
	v_add_co_u32 v8, s1, v24, v8
	v_lshlrev_b64 v[12:13], 4, v[12:13]
	v_add_co_ci_u32_e64 v9, s1, v25, v9, s1
	v_add_co_u32 v10, s1, v24, v10
	v_add_co_ci_u32_e64 v11, s1, v25, v11, s1
	v_add_co_u32 v52, s1, v24, v12
	v_add_co_ci_u32_e64 v53, s1, v25, v13, s1
	s_clause 0x4
	global_load_dwordx4 v[32:35], v[4:5], off
	global_load_dwordx4 v[24:27], v[6:7], off
	;; [unrolled: 1-line block ×5, first 2 shown]
.LBB0_11:
	s_or_b32 exec_lo, exec_lo, s6
	s_and_saveexec_b32 s1, s0
	s_cbranch_execz .LBB0_13
; %bb.12:
	s_waitcnt vmcnt(0)
	v_add_f64 v[52:53], v[50:51], -v[6:7]
	v_add_f64 v[54:55], v[48:49], v[0:1]
	s_mov_b32 s4, 0x66966769
	s_mov_b32 s5, 0x3fefc445
	;; [unrolled: 1-line block ×4, first 2 shown]
	v_add_f64 v[56:57], v[48:49], v[4:5]
	v_add_f64 v[58:59], v[46:47], -v[10:11]
	s_mov_b32 s24, 0x42a4c3d2
	s_mov_b32 s25, 0x3fea55e2
	;; [unrolled: 1-line block ×8, first 2 shown]
	v_add_f64 v[62:63], v[44:45], v[8:9]
	v_add_f64 v[66:67], v[38:39], -v[14:15]
	s_mov_b32 s26, 0x2ef20147
	s_mov_b32 s16, 0x1ea71119
	;; [unrolled: 1-line block ×4, first 2 shown]
	v_mul_f64 v[60:61], v[52:53], s[34:35]
	v_add_f64 v[54:55], v[44:45], v[54:55]
	v_mul_f64 v[64:65], v[52:53], s[36:37]
	s_mov_b32 s17, 0x3fe22d96
	s_mov_b32 s29, 0xbfe5384d
	;; [unrolled: 1-line block ×3, first 2 shown]
	v_mul_f64 v[87:88], v[52:53], s[28:29]
	v_mul_f64 v[79:80], v[58:59], s[20:21]
	v_mul_f64 v[83:84], v[58:59], s[26:27]
	s_mov_b32 s7, 0xbfef11f4
	s_mov_b32 s39, 0x3fedeba7
	v_add_f64 v[75:76], v[42:43], -v[26:27]
	v_add_f64 v[89:90], v[30:31], -v[34:35]
	;; [unrolled: 1-line block ×3, first 2 shown]
	s_mov_b32 s38, s26
	v_add_f64 v[73:74], v[12:13], v[36:37]
	v_mul_f64 v[105:106], v[52:53], s[26:27]
	v_mul_f64 v[97:98], v[66:67], s[38:39]
	s_mov_b32 s14, 0xb2365da1
	s_mov_b32 s22, 0xd0032e0c
	;; [unrolled: 1-line block ×4, first 2 shown]
	v_fma_f64 v[81:82], v[56:57], s[8:9], -v[60:61]
	v_add_f64 v[54:55], v[36:37], v[54:55]
	v_fma_f64 v[85:86], v[56:57], s[16:17], -v[64:65]
	s_mov_b32 s41, 0x3fddbe06
	s_mov_b32 s40, 0x4267c47c
	v_mul_f64 v[99:100], v[66:67], s[20:21]
	v_mul_f64 v[111:112], v[58:59], s[4:5]
	v_fma_f64 v[107:108], v[62:63], s[6:7], -v[79:80]
	v_fma_f64 v[109:110], v[62:63], s[14:15], -v[83:84]
	;; [unrolled: 1-line block ×3, first 2 shown]
	v_mul_f64 v[123:124], v[52:53], s[20:21]
	s_mov_b32 s43, 0x3fe5384d
	s_mov_b32 s42, s28
	v_mul_f64 v[101:102], v[75:76], s[40:41]
	v_mul_f64 v[121:122], v[91:92], s[40:41]
	;; [unrolled: 1-line block ×5, first 2 shown]
	s_mov_b32 s41, 0xbfddbe06
	v_add_f64 v[77:78], v[24:25], v[40:41]
	v_mul_f64 v[125:126], v[58:59], s[42:43]
	v_mul_f64 v[52:53], v[52:53], s[40:41]
	v_add_f64 v[81:82], v[81:82], v[0:1]
	v_add_f64 v[54:55], v[40:41], v[54:55]
	;; [unrolled: 1-line block ×3, first 2 shown]
	v_fma_f64 v[139:140], v[56:57], s[14:15], -v[105:106]
	v_fma_f64 v[141:142], v[73:74], s[14:15], -v[97:98]
	s_mov_b32 s18, 0xe00740e9
	v_mul_f64 v[103:104], v[75:76], s[42:43]
	v_mul_f64 v[127:128], v[66:67], s[36:37]
	s_mov_b32 s19, 0x3fec55a7
	v_add_f64 v[113:114], v[113:114], v[0:1]
	v_fma_f64 v[147:148], v[56:57], s[6:7], v[123:124]
	v_fma_f64 v[123:124], v[56:57], s[6:7], -v[123:124]
	v_fma_f64 v[87:88], v[56:57], s[22:23], v[87:88]
	v_fma_f64 v[105:106], v[56:57], s[14:15], v[105:106]
	;; [unrolled: 1-line block ×4, first 2 shown]
	v_mul_f64 v[58:59], v[58:59], s[36:37]
	v_mul_f64 v[143:144], v[66:67], s[28:29]
	v_fma_f64 v[79:80], v[62:63], s[6:7], v[79:80]
	v_fma_f64 v[149:150], v[77:78], s[18:19], -v[101:102]
	v_fma_f64 v[155:156], v[62:63], s[22:23], -v[125:126]
	v_fma_f64 v[125:126], v[62:63], s[22:23], v[125:126]
	v_add_f64 v[81:82], v[107:108], v[81:82]
	v_add_f64 v[54:55], v[28:29], v[54:55]
	v_fma_f64 v[107:108], v[73:74], s[6:7], -v[99:100]
	v_add_f64 v[85:86], v[109:110], v[85:86]
	v_fma_f64 v[109:110], v[62:63], s[8:9], -v[111:112]
	;; [unrolled: 2-line block ×3, first 2 shown]
	v_fma_f64 v[111:112], v[62:63], s[8:9], v[111:112]
	v_fma_f64 v[83:84], v[62:63], s[14:15], v[83:84]
	v_mul_f64 v[66:67], v[66:67], s[34:35]
	v_add_f64 v[147:148], v[147:148], v[0:1]
	v_add_f64 v[123:124], v[123:124], v[0:1]
	v_add_f64 v[87:88], v[87:88], v[0:1]
	v_add_f64 v[105:106], v[105:106], v[0:1]
	v_add_f64 v[60:61], v[60:61], v[0:1]
	v_add_f64 v[64:65], v[64:65], v[0:1]
	s_mov_b32 s31, 0x3fcea1e5
	s_mov_b32 s30, s20
	v_mul_f64 v[137:138], v[75:76], s[34:35]
	v_mul_f64 v[131:132], v[75:76], s[30:31]
	;; [unrolled: 1-line block ×3, first 2 shown]
	v_fma_f64 v[97:98], v[73:74], s[14:15], v[97:98]
	v_add_f64 v[81:82], v[141:142], v[81:82]
	v_fma_f64 v[141:142], v[56:57], s[18:19], -v[52:53]
	v_add_f64 v[54:55], v[20:21], v[54:55]
	v_fma_f64 v[52:53], v[56:57], s[18:19], v[52:53]
	v_add_f64 v[85:86], v[107:108], v[85:86]
	v_fma_f64 v[107:108], v[73:74], s[16:17], -v[127:128]
	v_add_f64 v[109:110], v[109:110], v[113:114]
	v_fma_f64 v[56:57], v[62:63], s[18:19], v[135:136]
	v_fma_f64 v[135:136], v[62:63], s[18:19], -v[135:136]
	v_fma_f64 v[113:114], v[73:74], s[18:19], -v[129:130]
	v_add_f64 v[139:140], v[155:156], v[139:140]
	v_fma_f64 v[99:100], v[73:74], s[6:7], v[99:100]
	v_add_f64 v[87:88], v[111:112], v[87:88]
	v_add_f64 v[105:106], v[125:126], v[105:106]
	;; [unrolled: 1-line block ×4, first 2 shown]
	v_fma_f64 v[83:84], v[73:74], s[8:9], -v[66:67]
	v_fma_f64 v[66:67], v[73:74], s[8:9], v[66:67]
	v_add_f64 v[93:94], v[28:29], v[32:33]
	v_mul_f64 v[115:116], v[89:90], s[36:37]
	v_mul_f64 v[117:118], v[89:90], s[4:5]
	v_fma_f64 v[155:156], v[77:78], s[6:7], -v[131:132]
	v_add_f64 v[81:82], v[149:150], v[81:82]
	v_fma_f64 v[149:150], v[62:63], s[16:17], -v[58:59]
	v_add_f64 v[141:142], v[141:142], v[0:1]
	v_add_f64 v[54:55], v[16:17], v[54:55]
	v_fma_f64 v[58:59], v[62:63], s[16:17], v[58:59]
	v_add_f64 v[0:1], v[52:53], v[0:1]
	v_add_f64 v[85:86], v[151:152], v[85:86]
	v_fma_f64 v[151:152], v[73:74], s[22:23], v[143:144]
	v_add_f64 v[107:108], v[107:108], v[109:110]
	v_fma_f64 v[109:110], v[73:74], s[22:23], -v[143:144]
	v_add_f64 v[52:53], v[56:57], v[147:148]
	v_add_f64 v[56:57], v[135:136], v[123:124]
	v_mul_f64 v[62:63], v[75:76], s[26:27]
	v_fma_f64 v[75:76], v[73:74], s[16:17], v[127:128]
	v_fma_f64 v[123:124], v[73:74], s[18:19], v[129:130]
	v_add_f64 v[111:112], v[113:114], v[139:140]
	v_fma_f64 v[79:80], v[77:78], s[8:9], -v[137:138]
	v_mul_f64 v[125:126], v[89:90], s[30:31]
	v_fma_f64 v[73:74], v[77:78], s[16:17], -v[145:146]
	v_add_f64 v[60:61], v[97:98], v[60:61]
	v_add_f64 v[64:65], v[99:100], v[64:65]
	v_fma_f64 v[97:98], v[77:78], s[18:19], v[101:102]
	v_fma_f64 v[99:100], v[77:78], s[22:23], v[103:104]
	v_add_f64 v[95:96], v[20:21], v[16:17]
	v_add_f64 v[113:114], v[149:150], v[141:142]
	;; [unrolled: 1-line block ×3, first 2 shown]
	v_mul_f64 v[119:120], v[91:92], s[28:29]
	v_add_f64 v[0:1], v[58:59], v[0:1]
	v_fma_f64 v[58:59], v[77:78], s[16:17], v[145:146]
	v_fma_f64 v[153:154], v[93:94], s[16:17], -v[115:116]
	v_fma_f64 v[157:158], v[93:94], s[8:9], -v[117:118]
	v_add_f64 v[107:108], v[155:156], v[107:108]
	v_add_f64 v[52:53], v[151:152], v[52:53]
	;; [unrolled: 1-line block ×3, first 2 shown]
	v_mul_f64 v[109:110], v[89:90], s[26:27]
	v_add_f64 v[75:76], v[75:76], v[87:88]
	v_add_f64 v[87:88], v[123:124], v[105:106]
	v_fma_f64 v[105:106], v[77:78], s[6:7], v[131:132]
	v_fma_f64 v[123:124], v[77:78], s[8:9], v[137:138]
	v_fma_f64 v[103:104], v[77:78], s[14:15], -v[62:63]
	v_mul_f64 v[89:90], v[89:90], s[28:29]
	v_fma_f64 v[62:63], v[77:78], s[14:15], v[62:63]
	v_add_f64 v[79:80], v[79:80], v[111:112]
	v_fma_f64 v[101:102], v[93:94], s[18:19], -v[133:134]
	v_fma_f64 v[111:112], v[93:94], s[6:7], -v[125:126]
	v_mul_f64 v[77:78], v[91:92], s[24:25]
	v_add_f64 v[83:84], v[83:84], v[113:114]
	v_add_f64 v[54:55], v[24:25], v[54:55]
	v_fma_f64 v[113:114], v[93:94], s[6:7], v[125:126]
	v_add_f64 v[0:1], v[66:67], v[0:1]
	v_mul_f64 v[66:67], v[91:92], s[26:27]
	v_add_f64 v[60:61], v[97:98], v[60:61]
	v_add_f64 v[64:65], v[99:100], v[64:65]
	v_fma_f64 v[97:98], v[93:94], s[16:17], v[115:116]
	v_add_f64 v[52:53], v[58:59], v[52:53]
	v_add_f64 v[56:57], v[73:74], v[56:57]
	v_fma_f64 v[58:59], v[93:94], s[14:15], v[109:110]
	v_fma_f64 v[73:74], v[93:94], s[14:15], -v[109:110]
	v_mul_f64 v[109:110], v[91:92], s[4:5]
	v_add_f64 v[75:76], v[105:106], v[75:76]
	v_add_f64 v[87:88], v[123:124], v[87:88]
	v_fma_f64 v[105:106], v[93:94], s[18:19], v[133:134]
	v_fma_f64 v[99:100], v[93:94], s[8:9], v[117:118]
	v_mul_f64 v[91:92], v[91:92], s[20:21]
	v_add_f64 v[81:82], v[153:154], v[81:82]
	v_add_f64 v[85:86], v[157:158], v[85:86]
	v_fma_f64 v[115:116], v[95:96], s[22:23], -v[119:120]
	v_add_f64 v[79:80], v[111:112], v[79:80]
	v_add_f64 v[83:84], v[103:104], v[83:84]
	v_fma_f64 v[103:104], v[93:94], s[22:23], -v[89:90]
	v_add_f64 v[54:55], v[12:13], v[54:55]
	v_fma_f64 v[89:90], v[93:94], s[22:23], v[89:90]
	v_add_f64 v[0:1], v[62:63], v[0:1]
	v_fma_f64 v[62:63], v[95:96], s[18:19], -v[121:122]
	v_add_f64 v[93:94], v[101:102], v[107:108]
	v_fma_f64 v[101:102], v[95:96], s[14:15], -v[66:67]
	v_fma_f64 v[107:108], v[95:96], s[16:17], -v[77:78]
	v_fma_f64 v[66:67], v[95:96], s[14:15], v[66:67]
	v_add_f64 v[52:53], v[58:59], v[52:53]
	v_add_f64 v[56:57], v[73:74], v[56:57]
	v_fma_f64 v[58:59], v[95:96], s[8:9], v[109:110]
	v_fma_f64 v[73:74], v[95:96], s[8:9], -v[109:110]
	v_add_f64 v[87:88], v[113:114], v[87:88]
	v_add_f64 v[75:76], v[105:106], v[75:76]
	v_fma_f64 v[77:78], v[95:96], s[16:17], v[77:78]
	v_add_f64 v[60:61], v[97:98], v[60:61]
	v_add_f64 v[64:65], v[99:100], v[64:65]
	v_fma_f64 v[97:98], v[95:96], s[22:23], v[119:120]
	v_fma_f64 v[99:100], v[95:96], s[18:19], v[121:122]
	v_add_f64 v[81:82], v[115:116], v[81:82]
	v_add_f64 v[83:84], v[103:104], v[83:84]
	v_fma_f64 v[103:104], v[95:96], s[6:7], -v[91:92]
	v_add_f64 v[54:55], v[8:9], v[54:55]
	v_fma_f64 v[91:92], v[95:96], s[6:7], v[91:92]
	v_add_f64 v[0:1], v[89:90], v[0:1]
	v_add_f64 v[62:63], v[62:63], v[85:86]
	;; [unrolled: 1-line block ×8, first 2 shown]
	v_mad_u32_u24 v75, 0x68, v72, 0
	v_add_f64 v[60:61], v[97:98], v[60:61]
	v_add_f64 v[64:65], v[99:100], v[64:65]
	;; [unrolled: 1-line block ×5, first 2 shown]
	ds_write2_b64 v75, v[62:63], v[81:82] offset0:2 offset1:3
	ds_write2_b64 v75, v[79:80], v[85:86] offset0:4 offset1:5
	ds_write2_b64 v75, v[56:57], v[52:53] offset0:6 offset1:7
	ds_write2_b64 v75, v[58:59], v[66:67] offset0:8 offset1:9
	ds_write2_b64 v75, v[60:61], v[64:65] offset0:10 offset1:11
	ds_write2_b64 v75, v[54:55], v[73:74] offset1:1
	ds_write_b64 v75, v[0:1] offset:96
.LBB0_13:
	s_or_b32 exec_lo, exec_lo, s1
	v_lshl_add_u32 v74, v72, 3, 0
	s_waitcnt vmcnt(0) lgkmcnt(0)
	s_barrier
	buffer_gl0_inv
	v_add_nc_u32_e32 v75, 0x1a00, v74
	v_add_nc_u32_e32 v76, 0xc00, v74
	v_add_nc_u32_e32 v77, 0x2600, v74
	ds_read2_b64 v[52:55], v74 offset1:208
	ds_read2_b64 v[60:63], v75 offset1:208
	ds_read2_b64 v[56:59], v76 offset0:32 offset1:240
	ds_read2_b64 v[64:67], v77 offset0:32 offset1:240
	s_waitcnt lgkmcnt(0)
	s_barrier
	buffer_gl0_inv
	s_and_saveexec_b32 s33, s0
	s_cbranch_execz .LBB0_15
; %bb.14:
	v_add_f64 v[0:1], v[50:51], v[2:3]
	v_add_f64 v[4:5], v[48:49], -v[4:5]
	s_mov_b32 s26, 0x42a4c3d2
	s_mov_b32 s28, 0x66966769
	s_mov_b32 s19, 0xbfddbe06
	s_mov_b32 s18, 0x4267c47c
	s_mov_b32 s27, 0xbfea55e2
	s_mov_b32 s29, 0xbfefc445
	s_mov_b32 s20, 0x2ef20147
	s_mov_b32 s22, 0x24c2f84
	s_mov_b32 s21, 0xbfedeba7
	s_mov_b32 s23, 0xbfe5384d
	s_mov_b32 s30, 0x4bc48dbf
	v_add_f64 v[50:51], v[50:51], v[6:7]
	s_mov_b32 s31, 0xbfcea1e5
	v_add_f64 v[8:9], v[44:45], -v[8:9]
	v_add_f64 v[44:45], v[14:15], v[38:39]
	v_add_f64 v[16:17], v[20:21], -v[16:17]
	s_mov_b32 s0, 0xe00740e9
	s_mov_b32 s4, 0x1ea71119
	;; [unrolled: 1-line block ×4, first 2 shown]
	v_add_f64 v[0:1], v[46:47], v[0:1]
	v_mul_f64 v[20:21], v[4:5], s[18:19]
	v_mul_f64 v[48:49], v[4:5], s[28:29]
	;; [unrolled: 1-line block ×4, first 2 shown]
	s_mov_b32 s5, 0x3fe22d96
	s_mov_b32 s7, 0x3fbedb7d
	;; [unrolled: 1-line block ×13, first 2 shown]
	v_add_f64 v[46:47], v[46:47], v[10:11]
	v_add_f64 v[12:13], v[36:37], -v[12:13]
	v_add_f64 v[24:25], v[40:41], -v[24:25]
	v_add_f64 v[40:41], v[30:31], v[34:35]
	v_add_f64 v[0:1], v[38:39], v[0:1]
	v_mul_f64 v[38:39], v[4:5], s[26:27]
	v_mul_f64 v[4:5], v[4:5], s[30:31]
	;; [unrolled: 1-line block ×8, first 2 shown]
	v_fma_f64 v[130:131], v[50:51], s[0:1], v[20:21]
	v_fma_f64 v[132:133], v[50:51], s[6:7], v[48:49]
	v_fma_f64 v[48:49], v[50:51], s[6:7], -v[48:49]
	v_fma_f64 v[134:135], v[50:51], s[8:9], v[78:79]
	v_fma_f64 v[78:79], v[50:51], s[8:9], -v[78:79]
	v_fma_f64 v[136:137], v[50:51], s[14:15], v[80:81]
	v_fma_f64 v[80:81], v[50:51], s[14:15], -v[80:81]
	v_fma_f64 v[20:21], v[50:51], s[0:1], -v[20:21]
	s_mov_b32 s39, 0x3fedeba7
	s_mov_b32 s38, s20
	v_mul_f64 v[92:93], v[12:13], s[28:29]
	v_mul_f64 v[94:95], v[12:13], s[30:31]
	;; [unrolled: 1-line block ×3, first 2 shown]
	v_add_f64 v[0:1], v[42:43], v[0:1]
	v_mul_f64 v[98:99], v[12:13], s[26:27]
	v_fma_f64 v[138:139], v[50:51], s[16:17], v[4:5]
	v_fma_f64 v[4:5], v[50:51], s[16:17], -v[4:5]
	v_mul_f64 v[100:101], v[12:13], s[22:23]
	v_mul_f64 v[12:13], v[12:13], s[18:19]
	v_fma_f64 v[140:141], v[46:47], s[8:9], v[84:85]
	v_fma_f64 v[84:85], v[46:47], s[8:9], -v[84:85]
	v_fma_f64 v[142:143], v[46:47], s[16:17], v[86:87]
	v_fma_f64 v[86:87], v[46:47], s[16:17], -v[86:87]
	;; [unrolled: 2-line block ×5, first 2 shown]
	v_add_f64 v[48:49], v[48:49], v[2:3]
	v_add_f64 v[78:79], v[78:79], v[2:3]
	;; [unrolled: 1-line block ×3, first 2 shown]
	s_mov_b32 s41, 0x3fcea1e5
	s_mov_b32 s35, 0x3fea55e2
	;; [unrolled: 1-line block ×3, first 2 shown]
	v_add_f64 v[0:1], v[30:31], v[0:1]
	v_fma_f64 v[30:31], v[50:51], s[4:5], v[38:39]
	v_fma_f64 v[38:39], v[50:51], s[4:5], -v[38:39]
	v_fma_f64 v[50:51], v[46:47], s[4:5], v[82:83]
	v_fma_f64 v[82:83], v[46:47], s[4:5], -v[82:83]
	v_add_f64 v[46:47], v[130:131], v[2:3]
	v_add_f64 v[130:131], v[132:133], v[2:3]
	v_add_f64 v[132:133], v[134:135], v[2:3]
	v_add_f64 v[134:135], v[136:137], v[2:3]
	v_add_f64 v[136:137], v[138:139], v[2:3]
	v_add_f64 v[4:5], v[4:5], v[2:3]
	s_mov_b32 s34, s26
	v_add_f64 v[36:37], v[26:27], v[42:43]
	v_add_f64 v[28:29], v[28:29], -v[32:33]
	v_add_f64 v[32:33], v[22:23], v[18:19]
	v_mul_f64 v[42:43], v[24:25], s[20:21]
	v_mul_f64 v[102:103], v[24:25], s[36:37]
	;; [unrolled: 1-line block ×6, first 2 shown]
	v_fma_f64 v[148:149], v[44:45], s[16:17], v[94:95]
	v_add_f64 v[0:1], v[22:23], v[0:1]
	v_add_f64 v[30:31], v[30:31], v[2:3]
	;; [unrolled: 1-line block ×4, first 2 shown]
	v_fma_f64 v[22:23], v[44:45], s[6:7], v[92:93]
	v_fma_f64 v[92:93], v[44:45], s[6:7], -v[92:93]
	v_fma_f64 v[94:95], v[44:45], s[16:17], -v[94:95]
	v_fma_f64 v[150:151], v[44:45], s[8:9], v[96:97]
	v_fma_f64 v[96:97], v[44:45], s[8:9], -v[96:97]
	v_fma_f64 v[152:153], v[44:45], s[4:5], v[98:99]
	v_fma_f64 v[98:99], v[44:45], s[4:5], -v[98:99]
	v_fma_f64 v[158:159], v[44:45], s[0:1], v[12:13]
	v_fma_f64 v[12:13], v[44:45], s[0:1], -v[12:13]
	v_add_f64 v[48:49], v[86:87], v[48:49]
	v_add_f64 v[78:79], v[88:89], v[78:79]
	v_add_f64 v[86:87], v[154:155], v[136:137]
	v_add_f64 v[4:5], v[8:9], v[4:5]
	v_add_f64 v[80:81], v[90:91], v[80:81]
	v_mul_f64 v[110:111], v[28:29], s[22:23]
	v_mul_f64 v[112:113], v[28:29], s[24:25]
	v_mul_f64 v[114:115], v[28:29], s[26:27]
	v_fma_f64 v[138:139], v[36:37], s[8:9], v[42:43]
	v_add_f64 v[0:1], v[18:19], v[0:1]
	v_fma_f64 v[18:19], v[44:45], s[14:15], v[100:101]
	v_fma_f64 v[100:101], v[44:45], s[14:15], -v[100:101]
	v_add_f64 v[44:45], v[50:51], v[46:47]
	v_add_f64 v[30:31], v[140:141], v[30:31]
	;; [unrolled: 1-line block ×7, first 2 shown]
	v_fma_f64 v[42:43], v[36:37], s[8:9], -v[42:43]
	v_fma_f64 v[20:21], v[36:37], s[14:15], v[102:103]
	v_fma_f64 v[102:103], v[36:37], s[14:15], -v[102:103]
	v_fma_f64 v[156:157], v[36:37], s[6:7], v[104:105]
	v_fma_f64 v[8:9], v[36:37], s[6:7], -v[104:105]
	v_fma_f64 v[88:89], v[36:37], s[16:17], -v[106:107]
	v_fma_f64 v[90:91], v[36:37], s[4:5], v[108:109]
	v_fma_f64 v[82:83], v[36:37], s[4:5], -v[108:109]
	v_fma_f64 v[108:109], v[36:37], s[0:1], v[24:25]
	v_fma_f64 v[24:25], v[36:37], s[0:1], -v[24:25]
	v_mul_f64 v[116:117], v[28:29], s[40:41]
	v_mul_f64 v[118:119], v[28:29], s[20:21]
	v_add_f64 v[0:1], v[34:35], v[0:1]
	v_fma_f64 v[34:35], v[36:37], s[16:17], v[106:107]
	v_mul_f64 v[28:29], v[28:29], s[18:19]
	v_add_f64 v[22:23], v[22:23], v[44:45]
	v_add_f64 v[30:31], v[148:149], v[30:31]
	v_add_f64 v[36:37], v[94:95], v[38:39]
	v_add_f64 v[38:39], v[150:151], v[46:47]
	v_add_f64 v[44:45], v[96:97], v[48:49]
	v_add_f64 v[46:47], v[158:159], v[50:51]
	v_add_f64 v[12:13], v[12:13], v[78:79]
	v_add_f64 v[48:49], v[152:153], v[84:85]
	v_add_f64 v[18:19], v[18:19], v[86:87]
	v_add_f64 v[4:5], v[100:101], v[4:5]
	v_add_f64 v[50:51], v[98:99], v[80:81]
	v_add_f64 v[2:3], v[92:93], v[2:3]
	v_mul_f64 v[120:121], v[16:17], s[30:31]
	v_mul_f64 v[122:123], v[16:17], s[22:23]
	;; [unrolled: 1-line block ×6, first 2 shown]
	v_fma_f64 v[104:105], v[40:41], s[14:15], v[110:111]
	v_add_f64 v[0:1], v[26:27], v[0:1]
	v_fma_f64 v[106:107], v[40:41], s[6:7], v[112:113]
	v_fma_f64 v[26:27], v[40:41], s[6:7], -v[112:113]
	v_fma_f64 v[78:79], v[40:41], s[4:5], v[114:115]
	v_add_f64 v[22:23], v[138:139], v[22:23]
	v_add_f64 v[20:21], v[20:21], v[30:31]
	;; [unrolled: 1-line block ×4, first 2 shown]
	v_fma_f64 v[84:85], v[40:41], s[16:17], v[116:117]
	v_fma_f64 v[96:97], v[40:41], s[0:1], v[28:29]
	v_add_f64 v[38:39], v[156:157], v[46:47]
	v_add_f64 v[8:9], v[8:9], v[12:13]
	;; [unrolled: 1-line block ×3, first 2 shown]
	v_fma_f64 v[92:93], v[40:41], s[8:9], v[118:119]
	v_fma_f64 v[94:95], v[40:41], s[8:9], -v[118:119]
	v_add_f64 v[18:19], v[90:91], v[18:19]
	v_add_f64 v[4:5], v[82:83], v[4:5]
	v_fma_f64 v[86:87], v[40:41], s[16:17], -v[116:117]
	v_fma_f64 v[28:29], v[40:41], s[0:1], -v[28:29]
	v_add_f64 v[34:35], v[88:89], v[50:51]
	v_fma_f64 v[80:81], v[40:41], s[4:5], -v[114:115]
	v_add_f64 v[24:25], v[24:25], v[44:45]
	v_add_f64 v[0:1], v[14:15], v[0:1]
	v_fma_f64 v[14:15], v[40:41], s[14:15], -v[110:111]
	v_add_f64 v[2:3], v[42:43], v[2:3]
	v_fma_f64 v[40:41], v[32:33], s[16:17], v[120:121]
	v_fma_f64 v[44:45], v[32:33], s[14:15], v[122:123]
	;; [unrolled: 1-line block ×3, first 2 shown]
	v_add_f64 v[22:23], v[104:105], v[22:23]
	v_add_f64 v[20:21], v[106:107], v[20:21]
	;; [unrolled: 1-line block ×4, first 2 shown]
	v_fma_f64 v[46:47], v[32:33], s[4:5], v[124:125]
	v_fma_f64 v[48:49], v[32:33], s[8:9], v[126:127]
	v_fma_f64 v[16:17], v[32:33], s[0:1], -v[16:17]
	v_add_f64 v[36:37], v[84:85], v[38:39]
	v_add_f64 v[12:13], v[96:97], v[12:13]
	v_fma_f64 v[50:51], v[32:33], s[6:7], v[128:129]
	v_add_f64 v[18:19], v[92:93], v[18:19]
	v_add_f64 v[4:5], v[94:95], v[4:5]
	v_fma_f64 v[42:43], v[32:33], s[4:5], -v[124:125]
	v_add_f64 v[8:9], v[86:87], v[8:9]
	v_add_f64 v[28:29], v[28:29], v[34:35]
	v_fma_f64 v[34:35], v[32:33], s[8:9], -v[126:127]
	v_add_f64 v[0:1], v[10:11], v[0:1]
	v_fma_f64 v[10:11], v[32:33], s[6:7], -v[128:129]
	;; [unrolled: 2-line block ×3, first 2 shown]
	v_fma_f64 v[32:33], v[32:33], s[16:17], -v[120:121]
	v_add_f64 v[2:3], v[14:15], v[2:3]
	v_add_f64 v[14:15], v[40:41], v[22:23]
	v_add_f64 v[20:21], v[82:83], v[20:21]
	v_add_f64 v[22:23], v[44:45], v[30:31]
	v_add_f64 v[16:17], v[16:17], v[26:27]
	v_add_f64 v[26:27], v[46:47], v[36:37]
	v_add_f64 v[12:13], v[48:49], v[12:13]
	v_add_f64 v[18:19], v[50:51], v[18:19]
	v_add_f64 v[8:9], v[42:43], v[8:9]
	v_add_f64 v[0:1], v[6:7], v[0:1]
	v_add_f64 v[4:5], v[10:11], v[4:5]
	v_add_f64 v[10:11], v[34:35], v[28:29]
	v_add_f64 v[24:25], v[38:39], v[24:25]
	v_mad_u32_u24 v6, 0x60, v72, v74
	v_add_f64 v[2:3], v[32:33], v[2:3]
	ds_write2_b64 v6, v[20:21], v[22:23] offset0:2 offset1:3
	ds_write2_b64 v6, v[26:27], v[12:13] offset0:4 offset1:5
	;; [unrolled: 1-line block ×5, first 2 shown]
	ds_write2_b64 v6, v[0:1], v[14:15] offset1:1
	ds_write_b64 v6, v[2:3] offset:96
.LBB0_15:
	s_or_b32 exec_lo, exec_lo, s33
	v_and_b32_e32 v0, 0xff, v72
	v_add_nc_u32_e32 v73, 0xd0, v72
	v_mov_b32_e32 v2, 0x4ec5
	v_add_nc_u32_e32 v19, 0x1a0, v72
	v_add_nc_u32_e32 v18, 0x270, v72
	v_mul_lo_u16 v78, 0x4f, v0
	v_mov_b32_e32 v48, 4
	v_mul_u32_u24_sdwa v79, v73, v2 dst_sel:DWORD dst_unused:UNUSED_PAD src0_sel:WORD_0 src1_sel:DWORD
	v_mul_u32_u24_sdwa v1, v19, v2 dst_sel:DWORD dst_unused:UNUSED_PAD src0_sel:WORD_0 src1_sel:DWORD
	;; [unrolled: 1-line block ×3, first 2 shown]
	v_lshrrev_b16 v44, 10, v78
	s_load_dwordx2 s[2:3], s[2:3], 0x0
	v_lshrrev_b32_e32 v45, 18, v79
	v_lshrrev_b32_e32 v46, 18, v1
	v_lshrrev_b32_e32 v47, 18, v0
	v_mul_lo_u16 v2, v44, 13
	s_waitcnt lgkmcnt(0)
	v_mul_lo_u16 v3, v45, 13
	v_mul_lo_u16 v4, v46, 13
	v_mul_lo_u16 v5, v47, 13
	v_sub_nc_u16 v49, v72, v2
	s_barrier
	v_sub_nc_u16 v50, v73, v3
	v_sub_nc_u16 v51, v19, v4
	;; [unrolled: 1-line block ×3, first 2 shown]
	v_lshlrev_b32_sdwa v2, v48, v49 dst_sel:DWORD dst_unused:UNUSED_PAD src0_sel:DWORD src1_sel:BYTE_0
	buffer_gl0_inv
	v_lshlrev_b32_sdwa v6, v48, v50 dst_sel:DWORD dst_unused:UNUSED_PAD src0_sel:DWORD src1_sel:WORD_0
	v_lshlrev_b32_sdwa v10, v48, v51 dst_sel:DWORD dst_unused:UNUSED_PAD src0_sel:DWORD src1_sel:WORD_0
	;; [unrolled: 1-line block ×3, first 2 shown]
	s_clause 0x3
	global_load_dwordx4 v[2:5], v2, s[12:13]
	global_load_dwordx4 v[6:9], v6, s[12:13]
	;; [unrolled: 1-line block ×4, first 2 shown]
	ds_read2_b64 v[20:23], v75 offset1:208
	ds_read2_b64 v[24:27], v77 offset0:32 offset1:240
	v_lshrrev_b16 v82, 12, v78
	v_lshrrev_b32_e32 v83, 20, v79
	s_waitcnt vmcnt(3) lgkmcnt(1)
	v_mul_f64 v[28:29], v[20:21], v[4:5]
	v_mul_f64 v[4:5], v[60:61], v[4:5]
	s_waitcnt vmcnt(2)
	v_mul_f64 v[30:31], v[22:23], v[8:9]
	v_mul_f64 v[8:9], v[62:63], v[8:9]
	s_waitcnt vmcnt(1) lgkmcnt(0)
	v_mul_f64 v[32:33], v[24:25], v[12:13]
	v_mul_f64 v[12:13], v[64:65], v[12:13]
	s_waitcnt vmcnt(0)
	v_mul_f64 v[34:35], v[26:27], v[16:17]
	v_mul_f64 v[16:17], v[66:67], v[16:17]
	v_fma_f64 v[36:37], v[60:61], v[2:3], -v[28:29]
	v_fma_f64 v[3:4], v[20:21], v[2:3], v[4:5]
	v_fma_f64 v[38:39], v[62:63], v[6:7], -v[30:31]
	v_fma_f64 v[5:6], v[22:23], v[6:7], v[8:9]
	;; [unrolled: 2-line block ×3, first 2 shown]
	v_fma_f64 v[42:43], v[66:67], v[14:15], -v[34:35]
	ds_read2_b64 v[28:31], v74 offset1:208
	ds_read2_b64 v[32:35], v76 offset0:32 offset1:240
	v_fma_f64 v[9:10], v[26:27], v[14:15], v[16:17]
	v_lshrrev_b16 v17, 11, v78
	v_mov_b32_e32 v60, 0xd0
	v_lshrrev_b32_e32 v61, 19, v79
	v_lshrrev_b32_e32 v62, 19, v1
	;; [unrolled: 1-line block ×3, first 2 shown]
	v_mul_lo_u16 v24, v17, 26
	v_mul_u32_u24_sdwa v22, v44, v60 dst_sel:DWORD dst_unused:UNUSED_PAD src0_sel:WORD_0 src1_sel:DWORD
	v_mov_b32_e32 v2, 3
	v_mul_u32_u24_e32 v23, 0xd0, v45
	v_mul_lo_u16 v44, v63, 26
	v_sub_nc_u16 v60, v72, v24
	s_waitcnt lgkmcnt(0)
	v_lshlrev_b32_sdwa v45, v2, v80 dst_sel:DWORD dst_unused:UNUSED_PAD src0_sel:DWORD src1_sel:WORD_0
	v_add_f64 v[11:12], v[52:53], -v[36:37]
	v_sub_nc_u16 v66, v18, v44
	v_add_f64 v[13:14], v[54:55], -v[38:39]
	v_lshlrev_b32_sdwa v44, v2, v51 dst_sel:DWORD dst_unused:UNUSED_PAD src0_sel:DWORD src1_sel:WORD_0
	v_add_f64 v[24:25], v[28:29], -v[3:4]
	v_add_f64 v[26:27], v[30:31], -v[5:6]
	v_add_f64 v[15:16], v[56:57], -v[40:41]
	v_add_f64 v[36:37], v[32:33], -v[7:8]
	v_add_f64 v[20:21], v[58:59], -v[42:43]
	v_add_f64 v[38:39], v[34:35], -v[9:10]
	v_mul_lo_u16 v42, v61, 26
	v_mul_lo_u16 v43, v62, 26
	v_mul_u32_u24_e32 v40, 0xd0, v46
	v_mul_u32_u24_e32 v41, 0xd0, v47
	v_lshlrev_b32_sdwa v46, v48, v60 dst_sel:DWORD dst_unused:UNUSED_PAD src0_sel:DWORD src1_sel:BYTE_0
	v_sub_nc_u16 v64, v73, v42
	v_lshlrev_b32_sdwa v42, v2, v49 dst_sel:DWORD dst_unused:UNUSED_PAD src0_sel:DWORD src1_sel:BYTE_0
	v_sub_nc_u16 v65, v19, v43
	v_lshlrev_b32_sdwa v43, v2, v50 dst_sel:DWORD dst_unused:UNUSED_PAD src0_sel:DWORD src1_sel:WORD_0
	v_add3_u32 v40, 0, v40, v44
	v_lshlrev_b32_sdwa v47, v48, v64 dst_sel:DWORD dst_unused:UNUSED_PAD src0_sel:DWORD src1_sel:WORD_0
	v_add3_u32 v42, 0, v22, v42
	v_fma_f64 v[3:4], v[52:53], 2.0, -v[11:12]
	v_add3_u32 v43, 0, v23, v43
	v_fma_f64 v[5:6], v[54:55], 2.0, -v[13:14]
	v_lshlrev_b32_sdwa v49, v48, v65 dst_sel:DWORD dst_unused:UNUSED_PAD src0_sel:DWORD src1_sel:WORD_0
	v_fma_f64 v[28:29], v[28:29], 2.0, -v[24:25]
	v_fma_f64 v[30:31], v[30:31], 2.0, -v[26:27]
	;; [unrolled: 1-line block ×6, first 2 shown]
	v_lshlrev_b32_sdwa v48, v48, v66 dst_sel:DWORD dst_unused:UNUSED_PAD src0_sel:DWORD src1_sel:WORD_0
	v_add3_u32 v41, 0, v41, v45
	s_barrier
	buffer_gl0_inv
	v_lshrrev_b32_e32 v1, 22, v1
	v_lshrrev_b32_e32 v0, 22, v0
	ds_write2_b64 v42, v[3:4], v[11:12] offset1:13
	ds_write2_b64 v43, v[5:6], v[13:14] offset1:13
	;; [unrolled: 1-line block ×4, first 2 shown]
	s_waitcnt lgkmcnt(0)
	s_barrier
	buffer_gl0_inv
	ds_read2_b64 v[3:6], v74 offset1:208
	ds_read2_b64 v[7:10], v75 offset1:208
	ds_read2_b64 v[11:14], v76 offset0:32 offset1:240
	ds_read2_b64 v[20:23], v77 offset0:32 offset1:240
	s_waitcnt lgkmcnt(0)
	s_barrier
	buffer_gl0_inv
	ds_write2_b64 v42, v[28:29], v[24:25] offset1:13
	ds_write2_b64 v43, v[30:31], v[26:27] offset1:13
	;; [unrolled: 1-line block ×4, first 2 shown]
	s_waitcnt lgkmcnt(0)
	s_barrier
	buffer_gl0_inv
	s_clause 0x3
	global_load_dwordx4 v[24:27], v46, s[12:13] offset:208
	global_load_dwordx4 v[28:31], v47, s[12:13] offset:208
	;; [unrolled: 1-line block ×4, first 2 shown]
	ds_read2_b64 v[40:43], v75 offset1:208
	ds_read2_b64 v[44:47], v77 offset0:32 offset1:240
	s_waitcnt vmcnt(3) lgkmcnt(1)
	v_mul_f64 v[15:16], v[40:41], v[26:27]
	v_mul_f64 v[26:27], v[7:8], v[26:27]
	s_waitcnt vmcnt(2)
	v_mul_f64 v[48:49], v[42:43], v[30:31]
	v_mul_f64 v[30:31], v[9:10], v[30:31]
	s_waitcnt vmcnt(1) lgkmcnt(0)
	v_mul_f64 v[50:51], v[44:45], v[34:35]
	v_mul_f64 v[34:35], v[20:21], v[34:35]
	s_waitcnt vmcnt(0)
	v_mul_f64 v[52:53], v[46:47], v[38:39]
	v_mul_f64 v[38:39], v[22:23], v[38:39]
	v_fma_f64 v[15:16], v[7:8], v[24:25], -v[15:16]
	v_fma_f64 v[24:25], v[40:41], v[24:25], v[26:27]
	v_fma_f64 v[48:49], v[9:10], v[28:29], -v[48:49]
	v_fma_f64 v[26:27], v[42:43], v[28:29], v[30:31]
	v_fma_f64 v[50:51], v[20:21], v[32:33], -v[50:51]
	ds_read2_b64 v[7:10], v74 offset1:208
	v_fma_f64 v[28:29], v[44:45], v[32:33], v[34:35]
	v_fma_f64 v[52:53], v[22:23], v[36:37], -v[52:53]
	v_fma_f64 v[30:31], v[46:47], v[36:37], v[38:39]
	ds_read2_b64 v[20:23], v76 offset0:32 offset1:240
	v_mul_lo_u16 v40, v82, 52
	v_mov_b32_e32 v38, 0x1a0
	v_mul_lo_u16 v41, v83, 52
	v_mul_u32_u24_e32 v39, 0x1a0, v62
	v_lshlrev_b32_sdwa v43, v2, v65 dst_sel:DWORD dst_unused:UNUSED_PAD src0_sel:DWORD src1_sel:WORD_0
	v_sub_nc_u16 v84, v72, v40
	v_mul_u32_u24_sdwa v17, v17, v38 dst_sel:DWORD dst_unused:UNUSED_PAD src0_sel:WORD_0 src1_sel:DWORD
	v_mul_u32_u24_e32 v38, 0x1a0, v61
	v_sub_nc_u16 v85, v73, v41
	v_lshlrev_b32_sdwa v41, v2, v64 dst_sel:DWORD dst_unused:UNUSED_PAD src0_sel:DWORD src1_sel:WORD_0
	v_lshlrev_b32_sdwa v40, v2, v60 dst_sel:DWORD dst_unused:UNUSED_PAD src0_sel:DWORD src1_sel:BYTE_0
	v_mul_u32_u24_e32 v42, 0x1a0, v63
	v_add_f64 v[15:16], v[3:4], -v[15:16]
	v_lshlrev_b32_sdwa v44, v2, v66 dst_sel:DWORD dst_unused:UNUSED_PAD src0_sel:DWORD src1_sel:WORD_0
	v_add_f64 v[32:33], v[5:6], -v[48:49]
	s_waitcnt lgkmcnt(1)
	v_add_f64 v[24:25], v[7:8], -v[24:25]
	v_add_f64 v[26:27], v[9:10], -v[26:27]
	;; [unrolled: 1-line block ×3, first 2 shown]
	v_mul_u32_u24_sdwa v45, v84, v2 dst_sel:DWORD dst_unused:UNUSED_PAD src0_sel:BYTE_0 src1_sel:DWORD
	s_waitcnt lgkmcnt(0)
	v_add_f64 v[28:29], v[20:21], -v[28:29]
	v_add_f64 v[36:37], v[13:14], -v[52:53]
	;; [unrolled: 1-line block ×3, first 2 shown]
	v_add3_u32 v47, 0, v38, v41
	v_add3_u32 v48, 0, v39, v43
	;; [unrolled: 1-line block ×4, first 2 shown]
	v_lshlrev_b32_e32 v50, 4, v45
	v_mul_u32_u24_sdwa v46, v85, v2 dst_sel:DWORD dst_unused:UNUSED_PAD src0_sel:WORD_0 src1_sel:DWORD
	s_barrier
	buffer_gl0_inv
	v_mov_b32_e32 v73, 0
	v_lshlrev_b32_e32 v46, 4, v46
	v_fma_f64 v[3:4], v[3:4], 2.0, -v[15:16]
	v_fma_f64 v[5:6], v[5:6], 2.0, -v[32:33]
	;; [unrolled: 1-line block ×8, first 2 shown]
	ds_write2_b64 v17, v[3:4], v[15:16] offset1:26
	ds_write2_b64 v47, v[5:6], v[32:33] offset1:26
	;; [unrolled: 1-line block ×4, first 2 shown]
	s_waitcnt lgkmcnt(0)
	s_barrier
	buffer_gl0_inv
	ds_read2_b64 v[3:6], v74 offset1:208
	ds_read2_b64 v[7:10], v76 offset0:32 offset1:240
	ds_read2_b64 v[11:14], v75 offset1:208
	ds_read2_b64 v[20:23], v77 offset0:32 offset1:240
	s_waitcnt lgkmcnt(0)
	s_barrier
	buffer_gl0_inv
	ds_write2_b64 v17, v[38:39], v[24:25] offset1:26
	ds_write2_b64 v47, v[40:41], v[26:27] offset1:26
	;; [unrolled: 1-line block ×4, first 2 shown]
	s_waitcnt lgkmcnt(0)
	s_barrier
	buffer_gl0_inv
	s_clause 0x5
	global_load_dwordx4 v[24:27], v50, s[12:13] offset:624
	global_load_dwordx4 v[28:31], v50, s[12:13] offset:640
	;; [unrolled: 1-line block ×6, first 2 shown]
	ds_read2_b64 v[48:51], v76 offset0:32 offset1:240
	ds_read2_b64 v[52:55], v75 offset1:208
	ds_read2_b64 v[56:59], v77 offset0:32 offset1:240
	s_waitcnt vmcnt(5) lgkmcnt(2)
	v_mul_f64 v[15:16], v[48:49], v[26:27]
	s_waitcnt vmcnt(4) lgkmcnt(1)
	v_mul_f64 v[60:61], v[52:53], v[30:31]
	s_waitcnt vmcnt(3) lgkmcnt(0)
	v_mul_f64 v[62:63], v[56:57], v[34:35]
	v_mul_f64 v[26:27], v[7:8], v[26:27]
	v_mul_f64 v[30:31], v[11:12], v[30:31]
	;; [unrolled: 1-line block ×3, first 2 shown]
	s_waitcnt vmcnt(2)
	v_mul_f64 v[64:65], v[50:51], v[38:39]
	s_waitcnt vmcnt(1)
	v_mul_f64 v[66:67], v[54:55], v[42:43]
	;; [unrolled: 2-line block ×3, first 2 shown]
	v_mul_f64 v[38:39], v[9:10], v[38:39]
	v_mul_f64 v[42:43], v[13:14], v[42:43]
	;; [unrolled: 1-line block ×3, first 2 shown]
	v_fma_f64 v[80:81], v[7:8], v[24:25], -v[15:16]
	v_fma_f64 v[11:12], v[11:12], v[28:29], -v[60:61]
	v_fma_f64 v[15:16], v[20:21], v[32:33], -v[62:63]
	v_fma_f64 v[24:25], v[48:49], v[24:25], v[26:27]
	v_fma_f64 v[26:27], v[52:53], v[28:29], v[30:31]
	;; [unrolled: 1-line block ×3, first 2 shown]
	v_fma_f64 v[20:21], v[9:10], v[36:37], -v[64:65]
	v_fma_f64 v[13:14], v[13:14], v[40:41], -v[66:67]
	;; [unrolled: 1-line block ×3, first 2 shown]
	ds_read2_b64 v[7:10], v74 offset1:208
	v_fma_f64 v[30:31], v[50:51], v[36:37], v[38:39]
	v_fma_f64 v[32:33], v[54:55], v[40:41], v[42:43]
	v_fma_f64 v[34:35], v[58:59], v[44:45], v[46:47]
	v_mul_lo_u16 v42, 0xd0, v1
	v_mul_lo_u16 v43, 0xd0, v0
	v_mul_u32_u24_e32 v44, 0x680, v83
	s_waitcnt lgkmcnt(0)
	s_barrier
	buffer_gl0_inv
	v_add_f64 v[11:12], v[3:4], -v[11:12]
	v_add_f64 v[36:37], v[80:81], -v[15:16]
	v_mov_b32_e32 v15, 0x680
	v_lshlrev_b64 v[16:17], 4, v[72:73]
	v_add_f64 v[28:29], v[24:25], -v[28:29]
	v_add_f64 v[26:27], v[7:8], -v[26:27]
	;; [unrolled: 1-line block ×4, first 2 shown]
	v_mul_u32_u24_sdwa v15, v82, v15 dst_sel:DWORD dst_unused:UNUSED_PAD src0_sel:WORD_0 src1_sel:DWORD
	v_add_f64 v[32:33], v[9:10], -v[32:33]
	v_add_f64 v[34:35], v[30:31], -v[34:35]
	v_fma_f64 v[3:4], v[3:4], 2.0, -v[11:12]
	v_fma_f64 v[38:39], v[80:81], 2.0, -v[36:37]
	;; [unrolled: 1-line block ×8, first 2 shown]
	v_sub_nc_u16 v30, v19, v42
	v_sub_nc_u16 v42, v18, v43
	v_lshlrev_b32_sdwa v43, v2, v84 dst_sel:DWORD dst_unused:UNUSED_PAD src0_sel:DWORD src1_sel:BYTE_0
	v_add_f64 v[36:37], v[26:27], v[36:37]
	v_add_f64 v[28:29], v[11:12], -v[28:29]
	v_and_b32_e32 v52, 0xffff, v30
	v_and_b32_e32 v53, 0xffff, v42
	v_add3_u32 v54, 0, v15, v43
	v_add_f64 v[30:31], v[13:14], -v[34:35]
	v_add_f64 v[22:23], v[32:33], v[22:23]
	v_lshlrev_b32_sdwa v2, v2, v85 dst_sel:DWORD dst_unused:UNUSED_PAD src0_sel:DWORD src1_sel:WORD_0
	v_add_f64 v[34:35], v[3:4], -v[38:39]
	v_add_co_u32 v20, s0, s12, v16
	v_add_co_ci_u32_e64 v21, s0, s13, v17, s0
	v_add3_u32 v55, 0, v44, v2
	v_add_f64 v[42:43], v[0:1], -v[7:8]
	v_lshlrev_b32_e32 v15, 4, v52
	v_add_f64 v[38:39], v[5:6], -v[40:41]
	v_add_co_u32 v40, s0, 0x800, v20
	v_add_f64 v[24:25], v[9:10], -v[24:25]
	v_lshlrev_b32_e32 v44, 4, v53
	v_add_co_ci_u32_e64 v41, s0, 0, v21, s0
	v_fma_f64 v[26:27], v[26:27], 2.0, -v[36:37]
	v_fma_f64 v[7:8], v[11:12], 2.0, -v[28:29]
	v_add_co_u32 v15, s0, s12, v15
	v_fma_f64 v[11:12], v[13:14], 2.0, -v[30:31]
	v_fma_f64 v[32:33], v[32:33], 2.0, -v[22:23]
	v_add_co_ci_u32_e64 v45, null, s13, 0, s0
	v_fma_f64 v[2:3], v[3:4], 2.0, -v[34:35]
	v_fma_f64 v[46:47], v[0:1], 2.0, -v[42:43]
	;; [unrolled: 1-line block ×3, first 2 shown]
	v_add_co_u32 v6, s0, s12, v44
	v_fma_f64 v[48:49], v[9:10], 2.0, -v[24:25]
	v_add_co_ci_u32_e64 v13, null, s13, 0, s0
	v_add_co_u32 v44, s0, 0x800, v15
	v_add_co_ci_u32_e64 v45, s0, 0, v45, s0
	v_add_co_u32 v50, s0, 0x800, v6
	v_add_co_ci_u32_e64 v51, s0, 0, v13, s0
	ds_write2_b64 v54, v[34:35], v[28:29] offset0:104 offset1:156
	ds_write2_b64 v54, v[2:3], v[7:8] offset1:52
	ds_write2_b64 v55, v[4:5], v[11:12] offset1:52
	ds_write2_b64 v55, v[38:39], v[30:31] offset0:104 offset1:156
	s_waitcnt lgkmcnt(0)
	s_barrier
	buffer_gl0_inv
	ds_read2_b64 v[0:3], v74 offset1:208
	ds_read2_b64 v[4:7], v75 offset1:208
	ds_read2_b64 v[8:11], v76 offset0:32 offset1:240
	ds_read2_b64 v[12:15], v77 offset0:32 offset1:240
	s_waitcnt lgkmcnt(0)
	s_barrier
	buffer_gl0_inv
	ds_write2_b64 v54, v[46:47], v[26:27] offset1:52
	ds_write2_b64 v54, v[42:43], v[36:37] offset0:104 offset1:156
	ds_write2_b64 v55, v[48:49], v[32:33] offset1:52
	ds_write2_b64 v55, v[24:25], v[22:23] offset0:104 offset1:156
	s_waitcnt lgkmcnt(0)
	s_barrier
	buffer_gl0_inv
	s_clause 0x2
	global_load_dwordx4 v[22:25], v[40:41], off offset:1072
	global_load_dwordx4 v[26:29], v[44:45], off offset:1072
	;; [unrolled: 1-line block ×3, first 2 shown]
	ds_read2_b64 v[34:37], v75 offset1:208
	ds_read2_b64 v[38:41], v77 offset0:32 offset1:240
	s_waitcnt vmcnt(2) lgkmcnt(1)
	v_mul_f64 v[42:43], v[34:35], v[24:25]
	v_mul_f64 v[50:51], v[4:5], v[24:25]
	v_mul_f64 v[44:45], v[36:37], v[24:25]
	v_mul_f64 v[24:25], v[6:7], v[24:25]
	s_waitcnt vmcnt(1) lgkmcnt(0)
	v_mul_f64 v[46:47], v[38:39], v[28:29]
	v_mul_f64 v[28:29], v[12:13], v[28:29]
	s_waitcnt vmcnt(0)
	v_mul_f64 v[48:49], v[40:41], v[32:33]
	v_mul_f64 v[32:33], v[14:15], v[32:33]
	v_fma_f64 v[42:43], v[4:5], v[22:23], -v[42:43]
	v_fma_f64 v[34:35], v[34:35], v[22:23], v[50:51]
	v_fma_f64 v[44:45], v[6:7], v[22:23], -v[44:45]
	v_fma_f64 v[22:23], v[36:37], v[22:23], v[24:25]
	v_fma_f64 v[46:47], v[12:13], v[26:27], -v[46:47]
	ds_read2_b64 v[4:7], v74 offset1:208
	v_fma_f64 v[24:25], v[38:39], v[26:27], v[28:29]
	v_fma_f64 v[48:49], v[14:15], v[30:31], -v[48:49]
	v_fma_f64 v[26:27], v[40:41], v[30:31], v[32:33]
	ds_read2_b64 v[12:15], v76 offset0:32 offset1:240
	v_add_co_u32 v38, s0, 0x1800, v20
	v_add_co_ci_u32_e64 v39, s0, 0, v21, s0
	v_lshl_add_u32 v50, v53, 3, 0
	v_add_co_u32 v40, s0, 0x2000, v20
	v_add_co_ci_u32_e64 v41, s0, 0, v21, s0
	v_add_nc_u32_e32 v50, 0x2600, v50
	s_waitcnt lgkmcnt(0)
	s_barrier
	v_add_f64 v[28:29], v[0:1], -v[42:43]
	v_lshl_add_u32 v42, v52, 3, 0
	v_add_f64 v[30:31], v[2:3], -v[44:45]
	v_add_f64 v[34:35], v[4:5], -v[34:35]
	;; [unrolled: 1-line block ×4, first 2 shown]
	v_add_nc_u32_e32 v51, 0x1a00, v42
	v_add_f64 v[24:25], v[12:13], -v[24:25]
	v_add_f64 v[36:37], v[10:11], -v[48:49]
	;; [unrolled: 1-line block ×3, first 2 shown]
	buffer_gl0_inv
	v_fma_f64 v[0:1], v[0:1], 2.0, -v[28:29]
	v_fma_f64 v[2:3], v[2:3], 2.0, -v[30:31]
	;; [unrolled: 1-line block ×8, first 2 shown]
	ds_write2_b64 v74, v[0:1], v[28:29] offset1:208
	ds_write2_b64 v76, v[2:3], v[30:31] offset0:32 offset1:240
	ds_write2_b64 v51, v[8:9], v[32:33] offset1:208
	ds_write2_b64 v50, v[10:11], v[36:37] offset0:32 offset1:240
	s_waitcnt lgkmcnt(0)
	s_barrier
	buffer_gl0_inv
	ds_read2_b64 v[0:3], v74 offset1:208
	ds_read2_b64 v[4:7], v75 offset1:208
	ds_read2_b64 v[8:11], v76 offset0:32 offset1:240
	ds_read2_b64 v[12:15], v77 offset0:32 offset1:240
	s_waitcnt lgkmcnt(0)
	s_barrier
	buffer_gl0_inv
	ds_write2_b64 v74, v[42:43], v[34:35] offset1:208
	ds_write2_b64 v76, v[44:45], v[22:23] offset0:32 offset1:240
	ds_write2_b64 v51, v[46:47], v[24:25] offset1:208
	ds_write2_b64 v50, v[48:49], v[26:27] offset0:32 offset1:240
	s_waitcnt lgkmcnt(0)
	s_barrier
	buffer_gl0_inv
	s_clause 0x1
	global_load_dwordx4 v[22:25], v[38:39], off offset:304
	global_load_dwordx4 v[26:29], v[40:41], off offset:1584
	ds_read2_b64 v[30:33], v75 offset1:208
	ds_read2_b64 v[34:37], v77 offset0:32 offset1:240
	s_waitcnt vmcnt(1) lgkmcnt(1)
	v_mul_f64 v[38:39], v[30:31], v[24:25]
	s_waitcnt vmcnt(0)
	v_mul_f64 v[40:41], v[32:33], v[28:29]
	s_waitcnt lgkmcnt(0)
	v_mul_f64 v[42:43], v[34:35], v[24:25]
	v_mul_f64 v[44:45], v[36:37], v[28:29]
	;; [unrolled: 1-line block ×6, first 2 shown]
	v_fma_f64 v[38:39], v[4:5], v[22:23], -v[38:39]
	v_fma_f64 v[40:41], v[6:7], v[26:27], -v[40:41]
	;; [unrolled: 1-line block ×4, first 2 shown]
	v_fma_f64 v[30:31], v[30:31], v[22:23], v[46:47]
	v_fma_f64 v[32:33], v[32:33], v[26:27], v[48:49]
	;; [unrolled: 1-line block ×4, first 2 shown]
	ds_read2_b64 v[4:7], v74 offset1:208
	ds_read2_b64 v[12:15], v76 offset0:32 offset1:240
	s_waitcnt lgkmcnt(0)
	s_barrier
	buffer_gl0_inv
	v_add_f64 v[26:27], v[0:1], -v[38:39]
	v_add_f64 v[28:29], v[2:3], -v[40:41]
	;; [unrolled: 1-line block ×8, first 2 shown]
	v_fma_f64 v[0:1], v[0:1], 2.0, -v[26:27]
	v_fma_f64 v[2:3], v[2:3], 2.0, -v[28:29]
	;; [unrolled: 1-line block ×4, first 2 shown]
	ds_write2_b64 v76, v[26:27], v[28:29] offset0:32 offset1:240
	ds_write2_b64 v77, v[34:35], v[36:37] offset0:32 offset1:240
	ds_write2_b64 v74, v[0:1], v[2:3] offset1:208
	ds_write2_b64 v75, v[8:9], v[10:11] offset1:208
	v_fma_f64 v[38:39], v[4:5], 2.0, -v[30:31]
	v_fma_f64 v[40:41], v[6:7], 2.0, -v[32:33]
	;; [unrolled: 1-line block ×4, first 2 shown]
	s_waitcnt lgkmcnt(0)
	s_barrier
	buffer_gl0_inv
	ds_read2_b64 v[0:3], v74 offset1:208
	ds_read2_b64 v[8:11], v75 offset1:208
	ds_read2_b64 v[4:7], v76 offset0:32 offset1:240
	ds_read2_b64 v[12:15], v77 offset0:32 offset1:240
	s_waitcnt lgkmcnt(0)
	s_barrier
	buffer_gl0_inv
	ds_write2_b64 v74, v[38:39], v[40:41] offset1:208
	ds_write2_b64 v76, v[30:31], v[32:33] offset0:32 offset1:240
	ds_write2_b64 v75, v[42:43], v[44:45] offset1:208
	ds_write2_b64 v77, v[22:23], v[24:25] offset0:32 offset1:240
	s_waitcnt lgkmcnt(0)
	s_barrier
	buffer_gl0_inv
	s_and_saveexec_b32 s0, vcc_lo
	s_cbranch_execz .LBB0_17
; %bb.16:
	v_add_co_u32 v22, vcc_lo, 0x5800, v20
	v_add_co_ci_u32_e32 v23, vcc_lo, 0, v21, vcc_lo
	v_add_co_u32 v28, vcc_lo, 0xd00, v20
	v_add_co_ci_u32_e32 v29, vcc_lo, 0, v21, vcc_lo
	;; [unrolled: 2-line block ×5, first 2 shown]
	s_clause 0x3
	global_load_dwordx4 v[22:25], v[22:23], off offset:560
	global_load_dwordx4 v[26:29], v[26:27], off offset:1328
	global_load_dwordx4 v[30:33], v[30:31], off offset:816
	global_load_dwordx4 v[34:37], v[20:21], off offset:816
	v_add_nc_u32_e32 v20, 0x2600, v74
	v_add_nc_u32_e32 v21, 0x1a00, v74
	ds_read2_b64 v[38:41], v20 offset0:32 offset1:240
	ds_read2_b64 v[42:45], v21 offset1:208
	v_mul_hi_u32 v46, 0x4ec4ec4f, v19
	v_mul_lo_u32 v62, s3, v70
	v_mul_lo_u32 v63, s2, v71
	v_mad_u64_u32 v[60:61], null, s2, v70, 0
	v_add_nc_u32_e32 v50, 0xc00, v74
	v_mul_hi_u32 v64, 0x4ec4ec4f, v18
	v_lshrrev_b32_e32 v65, 8, v46
	ds_read2_b64 v[46:49], v74 offset1:208
	ds_read2_b64 v[50:53], v50 offset0:32 offset1:240
	v_add3_u32 v61, v61, v63, v62
	v_mad_u32_u24 v72, 0x340, v65, v19
	v_lshrrev_b32_e32 v62, 8, v64
	s_waitcnt vmcnt(2)
	v_mul_f64 v[54:55], v[12:13], v[28:29]
	v_mul_f64 v[20:21], v[14:15], v[24:25]
	s_waitcnt lgkmcnt(3)
	v_mul_f64 v[24:25], v[40:41], v[24:25]
	v_mul_f64 v[28:29], v[38:39], v[28:29]
	s_waitcnt vmcnt(1)
	v_mul_f64 v[56:57], v[10:11], v[32:33]
	s_waitcnt lgkmcnt(2)
	v_mul_f64 v[32:33], v[44:45], v[32:33]
	s_waitcnt vmcnt(0)
	v_mul_f64 v[58:59], v[8:9], v[36:37]
	v_mul_f64 v[36:37], v[42:43], v[36:37]
	v_fma_f64 v[19:20], v[40:41], v[22:23], v[20:21]
	v_fma_f64 v[14:15], v[14:15], v[22:23], -v[24:25]
	v_fma_f64 v[21:22], v[38:39], v[26:27], v[54:55]
	v_fma_f64 v[12:13], v[12:13], v[26:27], -v[28:29]
	;; [unrolled: 2-line block ×4, first 2 shown]
	v_lshlrev_b64 v[8:9], 4, v[60:61]
	v_lshlrev_b64 v[10:11], 4, v[68:69]
	;; [unrolled: 1-line block ×3, first 2 shown]
	v_mad_u32_u24 v72, 0x340, v62, v18
	v_add_co_u32 v8, vcc_lo, s10, v8
	v_add_co_ci_u32_e32 v9, vcc_lo, s11, v9, vcc_lo
	v_lshlrev_b64 v[33:34], 4, v[72:73]
	v_add_co_u32 v35, vcc_lo, v8, v10
	v_add_co_ci_u32_e32 v36, vcc_lo, v9, v11, vcc_lo
	s_waitcnt lgkmcnt(0)
	v_add_f64 v[10:11], v[52:53], -v[19:20]
	v_add_f64 v[8:9], v[6:7], -v[14:15]
	;; [unrolled: 1-line block ×8, first 2 shown]
	v_add_co_u32 v16, vcc_lo, v35, v16
	v_add_co_ci_u32_e32 v17, vcc_lo, v36, v17, vcc_lo
	v_add_co_u32 v38, vcc_lo, v35, v31
	v_add_co_ci_u32_e32 v39, vcc_lo, v36, v32, vcc_lo
	;; [unrolled: 2-line block ×3, first 2 shown]
	v_add_co_u32 v42, vcc_lo, 0x3000, v16
	v_fma_f64 v[28:29], v[52:53], 2.0, -v[10:11]
	v_fma_f64 v[26:27], v[6:7], 2.0, -v[8:9]
	v_fma_f64 v[6:7], v[50:51], 2.0, -v[14:15]
	v_fma_f64 v[32:33], v[48:49], 2.0, -v[20:21]
	v_fma_f64 v[30:31], v[2:3], 2.0, -v[18:19]
	v_fma_f64 v[36:37], v[46:47], 2.0, -v[24:25]
	v_fma_f64 v[34:35], v[0:1], 2.0, -v[22:23]
	v_fma_f64 v[4:5], v[4:5], 2.0, -v[12:13]
	v_add_co_ci_u32_e32 v43, vcc_lo, 0, v17, vcc_lo
	v_add_co_u32 v0, vcc_lo, 0x800, v16
	v_add_co_ci_u32_e32 v1, vcc_lo, 0, v17, vcc_lo
	v_add_co_u32 v2, vcc_lo, 0x4000, v16
	;; [unrolled: 2-line block ×4, first 2 shown]
	v_add_co_ci_u32_e32 v47, vcc_lo, 0, v41, vcc_lo
	global_store_dwordx4 v[42:43], v[22:25], off offset:1024
	global_store_dwordx4 v[2:3], v[18:21], off offset:256
	global_store_dwordx4 v[44:45], v[12:15], off offset:1024
	global_store_dwordx4 v[16:17], v[34:37], off
	global_store_dwordx4 v[0:1], v[30:33], off offset:1280
	global_store_dwordx4 v[38:39], v[4:7], off
	global_store_dwordx4 v[40:41], v[26:29], off
	global_store_dwordx4 v[46:47], v[8:11], off offset:1024
.LBB0_17:
	s_endpgm
	.section	.rodata,"a",@progbits
	.p2align	6, 0x0
	.amdhsa_kernel fft_rtc_fwd_len1664_factors_13_2_2_4_2_2_2_wgs_208_tpt_208_halfLds_dp_op_CI_CI_unitstride_sbrr_dirReg
		.amdhsa_group_segment_fixed_size 0
		.amdhsa_private_segment_fixed_size 0
		.amdhsa_kernarg_size 104
		.amdhsa_user_sgpr_count 6
		.amdhsa_user_sgpr_private_segment_buffer 1
		.amdhsa_user_sgpr_dispatch_ptr 0
		.amdhsa_user_sgpr_queue_ptr 0
		.amdhsa_user_sgpr_kernarg_segment_ptr 1
		.amdhsa_user_sgpr_dispatch_id 0
		.amdhsa_user_sgpr_flat_scratch_init 0
		.amdhsa_user_sgpr_private_segment_size 0
		.amdhsa_wavefront_size32 1
		.amdhsa_uses_dynamic_stack 0
		.amdhsa_system_sgpr_private_segment_wavefront_offset 0
		.amdhsa_system_sgpr_workgroup_id_x 1
		.amdhsa_system_sgpr_workgroup_id_y 0
		.amdhsa_system_sgpr_workgroup_id_z 0
		.amdhsa_system_sgpr_workgroup_info 0
		.amdhsa_system_vgpr_workitem_id 0
		.amdhsa_next_free_vgpr 160
		.amdhsa_next_free_sgpr 44
		.amdhsa_reserve_vcc 1
		.amdhsa_reserve_flat_scratch 0
		.amdhsa_float_round_mode_32 0
		.amdhsa_float_round_mode_16_64 0
		.amdhsa_float_denorm_mode_32 3
		.amdhsa_float_denorm_mode_16_64 3
		.amdhsa_dx10_clamp 1
		.amdhsa_ieee_mode 1
		.amdhsa_fp16_overflow 0
		.amdhsa_workgroup_processor_mode 1
		.amdhsa_memory_ordered 1
		.amdhsa_forward_progress 0
		.amdhsa_shared_vgpr_count 0
		.amdhsa_exception_fp_ieee_invalid_op 0
		.amdhsa_exception_fp_denorm_src 0
		.amdhsa_exception_fp_ieee_div_zero 0
		.amdhsa_exception_fp_ieee_overflow 0
		.amdhsa_exception_fp_ieee_underflow 0
		.amdhsa_exception_fp_ieee_inexact 0
		.amdhsa_exception_int_div_zero 0
	.end_amdhsa_kernel
	.text
.Lfunc_end0:
	.size	fft_rtc_fwd_len1664_factors_13_2_2_4_2_2_2_wgs_208_tpt_208_halfLds_dp_op_CI_CI_unitstride_sbrr_dirReg, .Lfunc_end0-fft_rtc_fwd_len1664_factors_13_2_2_4_2_2_2_wgs_208_tpt_208_halfLds_dp_op_CI_CI_unitstride_sbrr_dirReg
                                        ; -- End function
	.section	.AMDGPU.csdata,"",@progbits
; Kernel info:
; codeLenInByte = 10320
; NumSgprs: 46
; NumVgprs: 160
; ScratchSize: 0
; MemoryBound: 1
; FloatMode: 240
; IeeeMode: 1
; LDSByteSize: 0 bytes/workgroup (compile time only)
; SGPRBlocks: 5
; VGPRBlocks: 19
; NumSGPRsForWavesPerEU: 46
; NumVGPRsForWavesPerEU: 160
; Occupancy: 6
; WaveLimiterHint : 1
; COMPUTE_PGM_RSRC2:SCRATCH_EN: 0
; COMPUTE_PGM_RSRC2:USER_SGPR: 6
; COMPUTE_PGM_RSRC2:TRAP_HANDLER: 0
; COMPUTE_PGM_RSRC2:TGID_X_EN: 1
; COMPUTE_PGM_RSRC2:TGID_Y_EN: 0
; COMPUTE_PGM_RSRC2:TGID_Z_EN: 0
; COMPUTE_PGM_RSRC2:TIDIG_COMP_CNT: 0
	.text
	.p2alignl 6, 3214868480
	.fill 48, 4, 3214868480
	.type	__hip_cuid_cec853fc779af074,@object ; @__hip_cuid_cec853fc779af074
	.section	.bss,"aw",@nobits
	.globl	__hip_cuid_cec853fc779af074
__hip_cuid_cec853fc779af074:
	.byte	0                               ; 0x0
	.size	__hip_cuid_cec853fc779af074, 1

	.ident	"AMD clang version 19.0.0git (https://github.com/RadeonOpenCompute/llvm-project roc-6.4.0 25133 c7fe45cf4b819c5991fe208aaa96edf142730f1d)"
	.section	".note.GNU-stack","",@progbits
	.addrsig
	.addrsig_sym __hip_cuid_cec853fc779af074
	.amdgpu_metadata
---
amdhsa.kernels:
  - .args:
      - .actual_access:  read_only
        .address_space:  global
        .offset:         0
        .size:           8
        .value_kind:     global_buffer
      - .offset:         8
        .size:           8
        .value_kind:     by_value
      - .actual_access:  read_only
        .address_space:  global
        .offset:         16
        .size:           8
        .value_kind:     global_buffer
      - .actual_access:  read_only
        .address_space:  global
        .offset:         24
        .size:           8
        .value_kind:     global_buffer
      - .actual_access:  read_only
        .address_space:  global
        .offset:         32
        .size:           8
        .value_kind:     global_buffer
      - .offset:         40
        .size:           8
        .value_kind:     by_value
      - .actual_access:  read_only
        .address_space:  global
        .offset:         48
        .size:           8
        .value_kind:     global_buffer
      - .actual_access:  read_only
        .address_space:  global
        .offset:         56
        .size:           8
        .value_kind:     global_buffer
      - .offset:         64
        .size:           4
        .value_kind:     by_value
      - .actual_access:  read_only
        .address_space:  global
        .offset:         72
        .size:           8
        .value_kind:     global_buffer
      - .actual_access:  read_only
        .address_space:  global
        .offset:         80
        .size:           8
        .value_kind:     global_buffer
      - .actual_access:  read_only
        .address_space:  global
        .offset:         88
        .size:           8
        .value_kind:     global_buffer
      - .actual_access:  write_only
        .address_space:  global
        .offset:         96
        .size:           8
        .value_kind:     global_buffer
    .group_segment_fixed_size: 0
    .kernarg_segment_align: 8
    .kernarg_segment_size: 104
    .language:       OpenCL C
    .language_version:
      - 2
      - 0
    .max_flat_workgroup_size: 208
    .name:           fft_rtc_fwd_len1664_factors_13_2_2_4_2_2_2_wgs_208_tpt_208_halfLds_dp_op_CI_CI_unitstride_sbrr_dirReg
    .private_segment_fixed_size: 0
    .sgpr_count:     46
    .sgpr_spill_count: 0
    .symbol:         fft_rtc_fwd_len1664_factors_13_2_2_4_2_2_2_wgs_208_tpt_208_halfLds_dp_op_CI_CI_unitstride_sbrr_dirReg.kd
    .uniform_work_group_size: 1
    .uses_dynamic_stack: false
    .vgpr_count:     160
    .vgpr_spill_count: 0
    .wavefront_size: 32
    .workgroup_processor_mode: 1
amdhsa.target:   amdgcn-amd-amdhsa--gfx1030
amdhsa.version:
  - 1
  - 2
...

	.end_amdgpu_metadata
